;; amdgpu-corpus repo=ROCm/rocFFT kind=compiled arch=gfx1030 opt=O3
	.text
	.amdgcn_target "amdgcn-amd-amdhsa--gfx1030"
	.amdhsa_code_object_version 6
	.protected	fft_rtc_fwd_len1980_factors_11_2_3_3_5_2_wgs_198_tpt_198_halfLds_sp_op_CI_CI_sbrr_dirReg ; -- Begin function fft_rtc_fwd_len1980_factors_11_2_3_3_5_2_wgs_198_tpt_198_halfLds_sp_op_CI_CI_sbrr_dirReg
	.globl	fft_rtc_fwd_len1980_factors_11_2_3_3_5_2_wgs_198_tpt_198_halfLds_sp_op_CI_CI_sbrr_dirReg
	.p2align	8
	.type	fft_rtc_fwd_len1980_factors_11_2_3_3_5_2_wgs_198_tpt_198_halfLds_sp_op_CI_CI_sbrr_dirReg,@function
fft_rtc_fwd_len1980_factors_11_2_3_3_5_2_wgs_198_tpt_198_halfLds_sp_op_CI_CI_sbrr_dirReg: ; @fft_rtc_fwd_len1980_factors_11_2_3_3_5_2_wgs_198_tpt_198_halfLds_sp_op_CI_CI_sbrr_dirReg
; %bb.0:
	s_clause 0x2
	s_load_dwordx4 s[16:19], s[4:5], 0x18
	s_load_dwordx4 s[12:15], s[4:5], 0x0
	;; [unrolled: 1-line block ×3, first 2 shown]
	v_mul_u32_u24_e32 v1, 0x14b, v0
	v_mov_b32_e32 v3, 0
	v_mov_b32_e32 v29, 0
	;; [unrolled: 1-line block ×3, first 2 shown]
	s_waitcnt lgkmcnt(0)
	s_load_dwordx2 s[20:21], s[16:17], 0x0
	s_load_dwordx2 s[2:3], s[18:19], 0x0
	v_cmp_lt_u64_e64 s0, s[14:15], 2
	v_add_nc_u32_sdwa v7, s6, v1 dst_sel:DWORD dst_unused:UNUSED_PAD src0_sel:DWORD src1_sel:WORD_1
	v_mov_b32_e32 v8, v3
	s_and_b32 vcc_lo, exec_lo, s0
	s_cbranch_vccnz .LBB0_8
; %bb.1:
	s_load_dwordx2 s[0:1], s[4:5], 0x10
	v_mov_b32_e32 v29, 0
	v_mov_b32_e32 v30, 0
	s_add_u32 s6, s18, 8
	s_addc_u32 s7, s19, 0
	v_mov_b32_e32 v1, v29
	s_add_u32 s22, s16, 8
	v_mov_b32_e32 v2, v30
	s_addc_u32 s23, s17, 0
	s_mov_b64 s[26:27], 1
	s_waitcnt lgkmcnt(0)
	s_add_u32 s24, s0, 8
	s_addc_u32 s25, s1, 0
.LBB0_2:                                ; =>This Inner Loop Header: Depth=1
	s_load_dwordx2 s[28:29], s[24:25], 0x0
                                        ; implicit-def: $vgpr5_vgpr6
	s_mov_b32 s0, exec_lo
	s_waitcnt lgkmcnt(0)
	v_or_b32_e32 v4, s29, v8
	v_cmpx_ne_u64_e32 0, v[3:4]
	s_xor_b32 s1, exec_lo, s0
	s_cbranch_execz .LBB0_4
; %bb.3:                                ;   in Loop: Header=BB0_2 Depth=1
	v_cvt_f32_u32_e32 v4, s28
	v_cvt_f32_u32_e32 v5, s29
	s_sub_u32 s0, 0, s28
	s_subb_u32 s30, 0, s29
	v_fmac_f32_e32 v4, 0x4f800000, v5
	v_rcp_f32_e32 v4, v4
	v_mul_f32_e32 v4, 0x5f7ffffc, v4
	v_mul_f32_e32 v5, 0x2f800000, v4
	v_trunc_f32_e32 v5, v5
	v_fmac_f32_e32 v4, 0xcf800000, v5
	v_cvt_u32_f32_e32 v5, v5
	v_cvt_u32_f32_e32 v4, v4
	v_mul_lo_u32 v6, s0, v5
	v_mul_hi_u32 v9, s0, v4
	v_mul_lo_u32 v10, s30, v4
	v_add_nc_u32_e32 v6, v9, v6
	v_mul_lo_u32 v9, s0, v4
	v_add_nc_u32_e32 v6, v6, v10
	v_mul_hi_u32 v10, v4, v9
	v_mul_lo_u32 v11, v4, v6
	v_mul_hi_u32 v12, v4, v6
	v_mul_hi_u32 v13, v5, v9
	v_mul_lo_u32 v9, v5, v9
	v_mul_hi_u32 v14, v5, v6
	v_mul_lo_u32 v6, v5, v6
	v_add_co_u32 v10, vcc_lo, v10, v11
	v_add_co_ci_u32_e32 v11, vcc_lo, 0, v12, vcc_lo
	v_add_co_u32 v9, vcc_lo, v10, v9
	v_add_co_ci_u32_e32 v9, vcc_lo, v11, v13, vcc_lo
	v_add_co_ci_u32_e32 v10, vcc_lo, 0, v14, vcc_lo
	v_add_co_u32 v6, vcc_lo, v9, v6
	v_add_co_ci_u32_e32 v9, vcc_lo, 0, v10, vcc_lo
	v_add_co_u32 v4, vcc_lo, v4, v6
	v_add_co_ci_u32_e32 v5, vcc_lo, v5, v9, vcc_lo
	v_mul_hi_u32 v6, s0, v4
	v_mul_lo_u32 v10, s30, v4
	v_mul_lo_u32 v9, s0, v5
	v_add_nc_u32_e32 v6, v6, v9
	v_mul_lo_u32 v9, s0, v4
	v_add_nc_u32_e32 v6, v6, v10
	v_mul_hi_u32 v10, v4, v9
	v_mul_lo_u32 v11, v4, v6
	v_mul_hi_u32 v12, v4, v6
	v_mul_hi_u32 v13, v5, v9
	v_mul_lo_u32 v9, v5, v9
	v_mul_hi_u32 v14, v5, v6
	v_mul_lo_u32 v6, v5, v6
	v_add_co_u32 v10, vcc_lo, v10, v11
	v_add_co_ci_u32_e32 v11, vcc_lo, 0, v12, vcc_lo
	v_add_co_u32 v9, vcc_lo, v10, v9
	v_add_co_ci_u32_e32 v9, vcc_lo, v11, v13, vcc_lo
	v_add_co_ci_u32_e32 v10, vcc_lo, 0, v14, vcc_lo
	v_add_co_u32 v6, vcc_lo, v9, v6
	v_add_co_ci_u32_e32 v9, vcc_lo, 0, v10, vcc_lo
	v_add_co_u32 v6, vcc_lo, v4, v6
	v_add_co_ci_u32_e32 v11, vcc_lo, v5, v9, vcc_lo
	v_mul_hi_u32 v13, v7, v6
	v_mad_u64_u32 v[9:10], null, v8, v6, 0
	v_mad_u64_u32 v[4:5], null, v7, v11, 0
	v_mad_u64_u32 v[11:12], null, v8, v11, 0
	v_add_co_u32 v4, vcc_lo, v13, v4
	v_add_co_ci_u32_e32 v5, vcc_lo, 0, v5, vcc_lo
	v_add_co_u32 v4, vcc_lo, v4, v9
	v_add_co_ci_u32_e32 v4, vcc_lo, v5, v10, vcc_lo
	v_add_co_ci_u32_e32 v5, vcc_lo, 0, v12, vcc_lo
	v_add_co_u32 v9, vcc_lo, v4, v11
	v_add_co_ci_u32_e32 v6, vcc_lo, 0, v5, vcc_lo
	v_mul_lo_u32 v10, s29, v9
	v_mad_u64_u32 v[4:5], null, s28, v9, 0
	v_mul_lo_u32 v11, s28, v6
	v_sub_co_u32 v4, vcc_lo, v7, v4
	v_add3_u32 v5, v5, v11, v10
	v_sub_nc_u32_e32 v10, v8, v5
	v_subrev_co_ci_u32_e64 v10, s0, s29, v10, vcc_lo
	v_add_co_u32 v11, s0, v9, 2
	v_add_co_ci_u32_e64 v12, s0, 0, v6, s0
	v_sub_co_u32 v13, s0, v4, s28
	v_sub_co_ci_u32_e32 v5, vcc_lo, v8, v5, vcc_lo
	v_subrev_co_ci_u32_e64 v10, s0, 0, v10, s0
	v_cmp_le_u32_e32 vcc_lo, s28, v13
	v_cmp_eq_u32_e64 s0, s29, v5
	v_cndmask_b32_e64 v13, 0, -1, vcc_lo
	v_cmp_le_u32_e32 vcc_lo, s29, v10
	v_cndmask_b32_e64 v14, 0, -1, vcc_lo
	v_cmp_le_u32_e32 vcc_lo, s28, v4
	;; [unrolled: 2-line block ×3, first 2 shown]
	v_cndmask_b32_e64 v15, 0, -1, vcc_lo
	v_cmp_eq_u32_e32 vcc_lo, s29, v10
	v_cndmask_b32_e64 v4, v15, v4, s0
	v_cndmask_b32_e32 v10, v14, v13, vcc_lo
	v_add_co_u32 v13, vcc_lo, v9, 1
	v_add_co_ci_u32_e32 v14, vcc_lo, 0, v6, vcc_lo
	v_cmp_ne_u32_e32 vcc_lo, 0, v10
	v_cndmask_b32_e32 v5, v14, v12, vcc_lo
	v_cndmask_b32_e32 v10, v13, v11, vcc_lo
	v_cmp_ne_u32_e32 vcc_lo, 0, v4
	v_cndmask_b32_e32 v6, v6, v5, vcc_lo
	v_cndmask_b32_e32 v5, v9, v10, vcc_lo
.LBB0_4:                                ;   in Loop: Header=BB0_2 Depth=1
	s_andn2_saveexec_b32 s0, s1
	s_cbranch_execz .LBB0_6
; %bb.5:                                ;   in Loop: Header=BB0_2 Depth=1
	v_cvt_f32_u32_e32 v4, s28
	s_sub_i32 s1, 0, s28
	v_rcp_iflag_f32_e32 v4, v4
	v_mul_f32_e32 v4, 0x4f7ffffe, v4
	v_cvt_u32_f32_e32 v4, v4
	v_mul_lo_u32 v5, s1, v4
	v_mul_hi_u32 v5, v4, v5
	v_add_nc_u32_e32 v4, v4, v5
	v_mul_hi_u32 v4, v7, v4
	v_mul_lo_u32 v5, v4, s28
	v_add_nc_u32_e32 v6, 1, v4
	v_sub_nc_u32_e32 v5, v7, v5
	v_subrev_nc_u32_e32 v9, s28, v5
	v_cmp_le_u32_e32 vcc_lo, s28, v5
	v_cndmask_b32_e32 v5, v5, v9, vcc_lo
	v_cndmask_b32_e32 v4, v4, v6, vcc_lo
	v_cmp_le_u32_e32 vcc_lo, s28, v5
	v_add_nc_u32_e32 v6, 1, v4
	v_cndmask_b32_e32 v5, v4, v6, vcc_lo
	v_mov_b32_e32 v6, v3
.LBB0_6:                                ;   in Loop: Header=BB0_2 Depth=1
	s_or_b32 exec_lo, exec_lo, s0
	v_mul_lo_u32 v4, v6, s28
	v_mul_lo_u32 v11, v5, s29
	s_load_dwordx2 s[0:1], s[22:23], 0x0
	v_mad_u64_u32 v[9:10], null, v5, s28, 0
	s_load_dwordx2 s[28:29], s[6:7], 0x0
	s_add_u32 s26, s26, 1
	s_addc_u32 s27, s27, 0
	s_add_u32 s6, s6, 8
	s_addc_u32 s7, s7, 0
	s_add_u32 s22, s22, 8
	v_add3_u32 v4, v10, v11, v4
	v_sub_co_u32 v7, vcc_lo, v7, v9
	s_addc_u32 s23, s23, 0
	s_add_u32 s24, s24, 8
	v_sub_co_ci_u32_e32 v4, vcc_lo, v8, v4, vcc_lo
	s_addc_u32 s25, s25, 0
	s_waitcnt lgkmcnt(0)
	v_mul_lo_u32 v8, s0, v4
	v_mul_lo_u32 v9, s1, v7
	v_mad_u64_u32 v[29:30], null, s0, v7, v[29:30]
	v_mul_lo_u32 v4, s28, v4
	v_mul_lo_u32 v10, s29, v7
	v_mad_u64_u32 v[1:2], null, s28, v7, v[1:2]
	v_cmp_ge_u64_e64 s0, s[26:27], s[14:15]
	v_add3_u32 v30, v9, v30, v8
	v_add3_u32 v2, v10, v2, v4
	s_and_b32 vcc_lo, exec_lo, s0
	s_cbranch_vccnz .LBB0_9
; %bb.7:                                ;   in Loop: Header=BB0_2 Depth=1
	v_mov_b32_e32 v8, v6
	v_mov_b32_e32 v7, v5
	s_branch .LBB0_2
.LBB0_8:
	v_mov_b32_e32 v1, v29
	v_mov_b32_e32 v5, v7
	;; [unrolled: 1-line block ×4, first 2 shown]
.LBB0_9:
	s_load_dwordx2 s[0:1], s[4:5], 0x28
	v_mul_hi_u32 v3, 0x14afd6b, v0
	s_lshl_b64 s[6:7], s[14:15], 3
	v_mov_b32_e32 v8, 0
	v_mov_b32_e32 v7, 0
	s_add_u32 s4, s18, s6
	s_addc_u32 s5, s19, s7
                                        ; implicit-def: $vgpr14
                                        ; implicit-def: $vgpr12
                                        ; implicit-def: $vgpr10
                                        ; implicit-def: $vgpr26
                                        ; implicit-def: $vgpr24
                                        ; implicit-def: $vgpr22
                                        ; implicit-def: $vgpr18
                                        ; implicit-def: $vgpr16
                                        ; implicit-def: $vgpr20
                                        ; implicit-def: $vgpr28
	v_mul_u32_u24_e32 v3, 0xc6, v3
	v_sub_nc_u32_e32 v3, v0, v3
	s_waitcnt lgkmcnt(0)
	v_cmp_gt_u64_e32 vcc_lo, s[0:1], v[5:6]
	v_cmp_gt_u32_e64 s0, 0xb4, v3
	s_and_b32 s1, vcc_lo, s0
	s_and_saveexec_b32 s14, s1
	s_cbranch_execz .LBB0_11
; %bb.10:
	s_add_u32 s6, s16, s6
	s_addc_u32 s7, s17, s7
	v_mad_u64_u32 v[7:8], null, s20, v3, 0
	s_load_dwordx2 s[6:7], s[6:7], 0x0
	v_add_nc_u32_e32 v22, 0xb4, v3
	v_add_nc_u32_e32 v24, 0x168, v3
	;; [unrolled: 1-line block ×4, first 2 shown]
	v_lshlrev_b64 v[9:10], 3, v[29:30]
	v_mad_u64_u32 v[11:12], null, s20, v22, 0
	v_mov_b32_e32 v0, v8
	v_mad_u64_u32 v[13:14], null, s20, v24, 0
	v_mad_u64_u32 v[15:16], null, s20, v25, 0
	v_mad_u64_u32 v[19:20], null, s21, v3, v[0:1]
	v_mov_b32_e32 v0, v12
	v_mad_u64_u32 v[20:21], null, s20, v26, 0
	v_mov_b32_e32 v4, v14
	v_mov_b32_e32 v12, v16
	s_waitcnt lgkmcnt(0)
	v_mul_lo_u32 v8, s7, v5
	v_mul_lo_u32 v23, s6, v6
	v_mad_u64_u32 v[17:18], null, s6, v5, 0
	v_add_nc_u32_e32 v29, 0x5a0, v3
	v_add_nc_u32_e32 v34, 0x654, v3
	;; [unrolled: 1-line block ×3, first 2 shown]
	v_add3_u32 v18, v18, v23, v8
	v_mad_u64_u32 v[22:23], null, s21, v22, v[0:1]
	v_mov_b32_e32 v8, v19
	v_mad_u64_u32 v[23:24], null, s21, v24, v[4:5]
	v_lshlrev_b64 v[16:17], 3, v[17:18]
	v_mad_u64_u32 v[18:19], null, s21, v25, v[12:13]
	v_mov_b32_e32 v12, v22
	v_add_nc_u32_e32 v22, 0x384, v3
	v_lshlrev_b64 v[7:8], 3, v[7:8]
	v_add_co_u32 v0, s1, s8, v16
	v_add_co_ci_u32_e64 v4, s1, s9, v17, s1
	v_mov_b32_e32 v14, v23
	v_add_co_u32 v36, s1, v0, v9
	v_mov_b32_e32 v16, v18
	v_mov_b32_e32 v0, v21
	v_mad_u64_u32 v[17:18], null, s20, v22, 0
	v_add_co_ci_u32_e64 v4, s1, v4, v10, s1
	v_lshlrev_b64 v[9:10], 3, v[11:12]
	v_add_co_u32 v7, s1, v36, v7
	v_lshlrev_b64 v[11:12], 3, v[13:14]
	v_lshlrev_b64 v[13:14], 3, v[15:16]
	v_mad_u64_u32 v[15:16], null, s21, v26, v[0:1]
	v_add_co_ci_u32_e64 v8, s1, v4, v8, s1
	v_add_co_u32 v9, s1, v36, v9
	v_mov_b32_e32 v0, v18
	v_add_nc_u32_e32 v24, 0x438, v3
	v_add_co_ci_u32_e64 v10, s1, v4, v10, s1
	v_add_co_u32 v11, s1, v36, v11
	v_add_co_ci_u32_e64 v12, s1, v4, v12, s1
	v_mov_b32_e32 v21, v15
	v_add_co_u32 v18, s1, v36, v13
	v_mad_u64_u32 v[15:16], null, s21, v22, v[0:1]
	v_mad_u64_u32 v[22:23], null, s20, v24, 0
	v_add_co_ci_u32_e64 v19, s1, v4, v14, s1
	s_clause 0x3
	global_load_dwordx2 v[7:8], v[7:8], off
	global_load_dwordx2 v[13:14], v[9:10], off
	;; [unrolled: 1-line block ×4, first 2 shown]
	v_lshlrev_b64 v[19:20], 3, v[20:21]
	v_add_nc_u32_e32 v21, 0x4ec, v3
	v_mov_b32_e32 v18, v15
	v_mov_b32_e32 v0, v23
	v_mad_u64_u32 v[15:16], null, s20, v21, 0
	v_mad_u64_u32 v[23:24], null, s21, v24, v[0:1]
	;; [unrolled: 1-line block ×3, first 2 shown]
	v_add_co_u32 v19, s1, v36, v19
	v_mov_b32_e32 v0, v16
	v_lshlrev_b64 v[16:17], 3, v[17:18]
	v_add_co_ci_u32_e64 v20, s1, v4, v20, s1
	v_mad_u64_u32 v[26:27], null, s21, v21, v[0:1]
	v_mov_b32_e32 v0, v25
	v_mad_u64_u32 v[27:28], null, s20, v34, 0
	v_add_co_u32 v32, s1, v36, v16
	v_mad_u64_u32 v[29:30], null, s21, v29, v[0:1]
	v_mad_u64_u32 v[30:31], null, s20, v35, 0
	v_mov_b32_e32 v0, v28
	v_add_co_ci_u32_e64 v33, s1, v4, v17, s1
	v_lshlrev_b64 v[17:18], 3, v[22:23]
	v_mov_b32_e32 v16, v26
	v_mad_u64_u32 v[21:22], null, s21, v34, v[0:1]
	v_mov_b32_e32 v0, v31
	v_mov_b32_e32 v25, v29
	v_lshlrev_b64 v[15:16], 3, v[15:16]
	v_add_co_u32 v17, s1, v36, v17
	v_mad_u64_u32 v[22:23], null, s21, v35, v[0:1]
	v_mov_b32_e32 v28, v21
	v_lshlrev_b64 v[23:24], 3, v[24:25]
	v_add_co_ci_u32_e64 v18, s1, v4, v18, s1
	v_add_co_u32 v15, s1, v36, v15
	v_mov_b32_e32 v31, v22
	v_lshlrev_b64 v[25:26], 3, v[27:28]
	v_add_co_ci_u32_e64 v16, s1, v4, v16, s1
	v_add_co_u32 v34, s1, v36, v23
	v_lshlrev_b64 v[21:22], 3, v[30:31]
	v_add_co_ci_u32_e64 v35, s1, v4, v24, s1
	v_add_co_u32 v29, s1, v36, v25
	v_add_co_ci_u32_e64 v30, s1, v4, v26, s1
	v_add_co_u32 v36, s1, v36, v21
	v_add_co_ci_u32_e64 v37, s1, v4, v22, s1
	s_clause 0x6
	global_load_dwordx2 v[25:26], v[19:20], off
	global_load_dwordx2 v[23:24], v[32:33], off
	;; [unrolled: 1-line block ×7, first 2 shown]
.LBB0_11:
	s_or_b32 exec_lo, exec_lo, s14
	s_waitcnt vmcnt(0)
	v_add_f32_e32 v31, v13, v15
	v_sub_f32_e32 v42, v14, v16
	v_add_f32_e32 v0, v11, v19
	v_sub_f32_e32 v41, v12, v20
	v_add_f32_e32 v29, v9, v17
	v_mul_f32_e32 v35, 0x3f575c64, v31
	v_sub_f32_e32 v40, v10, v18
	v_mul_f32_e32 v34, 0x3ed4b147, v0
	v_add_f32_e32 v30, v25, v27
	v_mul_f32_e32 v36, 0xbe11bafb, v29
	v_fmamk_f32 v4, v42, 0xbf0a6770, v35
	v_sub_f32_e32 v39, v26, v28
	v_fmamk_f32 v32, v41, 0xbf68dda4, v34
	v_mul_f32_e32 v33, 0xbf27a4f4, v30
	v_fmamk_f32 v38, v40, 0xbf7d64f0, v36
	v_add_f32_e32 v4, v7, v4
	v_sub_f32_e32 v37, v24, v22
	v_fmamk_f32 v43, v39, 0xbf4178ce, v33
	v_add_f32_e32 v4, v4, v32
	v_add_f32_e32 v32, v23, v21
	;; [unrolled: 1-line block ×3, first 2 shown]
	v_mul_f32_e32 v38, 0xbf75a155, v32
	v_add_f32_e32 v4, v4, v43
	v_fmamk_f32 v43, v37, 0xbe903f40, v38
	v_add_f32_e32 v4, v43, v4
	s_and_saveexec_b32 s1, s0
	s_cbranch_execz .LBB0_13
; %bb.12:
	v_mul_f32_e32 v43, 0xbe903f40, v42
	v_mul_f32_e32 v47, 0x3f0a6770, v41
	;; [unrolled: 1-line block ×5, first 2 shown]
	v_fmamk_f32 v48, v31, 0xbf75a155, v43
	v_fmamk_f32 v52, v0, 0x3f575c64, v47
	;; [unrolled: 1-line block ×3, first 2 shown]
	v_fma_f32 v43, 0xbf75a155, v31, -v43
	v_fmamk_f32 v56, v30, 0x3ed4b147, v53
	v_add_f32_e32 v48, v7, v48
	v_fma_f32 v47, 0x3f575c64, v0, -v47
	v_mul_f32_e32 v54, 0xbf7d64f0, v37
	v_add_f32_e32 v43, v7, v43
	v_fma_f32 v51, 0xbf27a4f4, v29, -v51
	v_add_f32_e32 v48, v48, v52
	v_mul_f32_e32 v52, 0xbf4178ce, v42
	v_mul_f32_e32 v58, 0xbe903f40, v39
	v_add_f32_e32 v43, v43, v47
	v_mul_f32_e32 v61, 0x3f68dda4, v40
	v_add_f32_e32 v48, v55, v48
	v_fmamk_f32 v55, v31, 0xbf27a4f4, v52
	v_fma_f32 v52, 0xbf27a4f4, v31, -v52
	v_add_f32_e32 v43, v51, v43
	v_fma_f32 v51, 0x3ed4b147, v30, -v53
	v_add_f32_e32 v47, v48, v56
	v_add_f32_e32 v48, v7, v55
	v_fmamk_f32 v55, v0, 0xbe11bafb, v57
	v_mul_f32_e32 v56, 0xbf0a6770, v40
	v_fmamk_f32 v53, v32, 0xbe11bafb, v54
	v_add_f32_e32 v52, v7, v52
	v_fma_f32 v57, 0xbe11bafb, v0, -v57
	v_add_f32_e32 v48, v48, v55
	v_fmamk_f32 v55, v29, 0x3f575c64, v56
	v_add_f32_e32 v43, v43, v51
	v_fma_f32 v51, 0xbe11bafb, v32, -v54
	v_add_f32_e32 v47, v53, v47
	v_fmamk_f32 v53, v30, 0xbf75a155, v58
	v_add_f32_e32 v48, v55, v48
	v_mul_f32_e32 v54, 0xbf7d64f0, v42
	v_add_f32_e32 v52, v52, v57
	v_fma_f32 v56, 0x3f575c64, v29, -v56
	v_add_f32_e32 v43, v51, v43
	v_mul_f32_e32 v51, 0x3f68dda4, v37
	v_add_f32_e32 v48, v48, v53
	v_fmamk_f32 v53, v31, 0xbe11bafb, v54
	v_mul_f32_e32 v55, 0x3e903f40, v41
	v_add_f32_e32 v52, v56, v52
	v_fma_f32 v56, 0xbf75a155, v30, -v58
	v_add_f32_e32 v58, v7, v13
	v_fmamk_f32 v59, v32, 0x3ed4b147, v51
	v_add_f32_e32 v53, v7, v53
	v_fmamk_f32 v60, v0, 0xbf75a155, v55
	v_mul_f32_e32 v44, 0xbf0a6770, v42
	v_add_f32_e32 v58, v58, v11
	v_add_f32_e32 v48, v59, v48
	v_fmamk_f32 v57, v29, 0x3ed4b147, v61
	v_add_f32_e32 v53, v53, v60
	v_mul_f32_e32 v59, 0xbf0a6770, v39
	v_fma_f32 v54, 0xbe11bafb, v31, -v54
	v_add_f32_e32 v58, v58, v9
	v_fma_f32 v55, 0xbf75a155, v0, -v55
	v_add_f32_e32 v53, v57, v53
	v_fmamk_f32 v57, v30, 0x3f575c64, v59
	v_add_f32_e32 v54, v7, v54
	v_mul_f32_e32 v42, 0xbf68dda4, v42
	v_sub_f32_e32 v35, v35, v44
	v_add_f32_e32 v44, v58, v25
	v_mul_f32_e32 v45, 0xbf68dda4, v41
	v_add_f32_e32 v53, v53, v57
	v_add_f32_e32 v54, v54, v55
	v_fma_f32 v55, 0x3ed4b147, v29, -v61
	v_fmamk_f32 v57, v31, 0x3ed4b147, v42
	v_mul_f32_e32 v41, 0xbf4178ce, v41
	v_fma_f32 v31, 0x3ed4b147, v31, -v42
	v_add_f32_e32 v42, v44, v23
	v_mul_f32_e32 v46, 0xbf7d64f0, v40
	v_add_f32_e32 v54, v55, v54
	v_fma_f32 v55, 0x3f575c64, v30, -v59
	v_add_f32_e32 v57, v7, v57
	v_fmamk_f32 v59, v0, 0xbf27a4f4, v41
	v_mul_f32_e32 v40, 0x3e903f40, v40
	v_add_f32_e32 v35, v7, v35
	v_sub_f32_e32 v34, v34, v45
	v_add_f32_e32 v7, v7, v31
	v_fma_f32 v0, 0xbf27a4f4, v0, -v41
	v_add_f32_e32 v41, v42, v21
	v_add_f32_e32 v52, v52, v56
	v_mul_f32_e32 v56, 0xbf4178ce, v37
	v_mul_f32_e32 v49, 0xbf4178ce, v39
	v_add_f32_e32 v57, v57, v59
	v_fmamk_f32 v59, v29, 0xbf75a155, v40
	v_add_f32_e32 v34, v35, v34
	v_sub_f32_e32 v35, v36, v46
	v_add_f32_e32 v0, v7, v0
	v_fma_f32 v7, 0xbf75a155, v29, -v40
	v_add_f32_e32 v29, v41, v27
	v_mul_f32_e32 v39, 0x3f7d64f0, v39
	v_add_f32_e32 v54, v54, v55
	v_fma_f32 v55, 0xbf27a4f4, v32, -v56
	v_mul_f32_e32 v50, 0xbe903f40, v37
	v_add_f32_e32 v34, v35, v34
	v_sub_f32_e32 v33, v33, v49
	v_add_f32_e32 v0, v7, v0
	v_add_f32_e32 v7, v17, v29
	v_fmamk_f32 v31, v30, 0xbe11bafb, v39
	v_fma_f32 v29, 0xbe11bafb, v30, -v39
	v_mul_f32_e32 v30, 0x3f0a6770, v37
	v_add_f32_e32 v54, v55, v54
	v_add_f32_e32 v55, v59, v57
	;; [unrolled: 1-line block ×3, first 2 shown]
	v_sub_f32_e32 v34, v38, v50
	v_add_f32_e32 v7, v19, v7
	v_add_f32_e32 v0, v0, v29
	v_fma_f32 v29, 0x3f575c64, v32, -v30
	v_fma_f32 v51, 0x3ed4b147, v32, -v51
	v_fmamk_f32 v56, v32, 0xbf27a4f4, v56
	v_add_f32_e32 v31, v55, v31
	v_fmamk_f32 v30, v32, 0x3f575c64, v30
	v_add_f32_e32 v32, v34, v33
	v_add_f32_e32 v7, v15, v7
	v_mad_u32_u24 v33, v3, 44, 0
	v_add_f32_e32 v0, v29, v0
	v_add_f32_e32 v29, v51, v52
	v_add_f32_e32 v34, v56, v53
	v_add_f32_e32 v30, v30, v31
	ds_write2_b32 v33, v7, v32 offset1:1
	ds_write2_b32 v33, v0, v54 offset0:2 offset1:3
	ds_write2_b32 v33, v29, v43 offset0:4 offset1:5
	;; [unrolled: 1-line block ×4, first 2 shown]
	ds_write_b32 v33, v4 offset:40
.LBB0_13:
	s_or_b32 exec_lo, exec_lo, s1
	v_sub_f32_e32 v46, v13, v15
	v_add_f32_e32 v43, v14, v16
	v_sub_f32_e32 v42, v11, v19
	v_add_f32_e32 v41, v12, v20
	v_sub_f32_e32 v40, v9, v17
	v_mul_f32_e32 v45, 0xbf0a6770, v46
	v_add_f32_e32 v39, v10, v18
	v_mul_f32_e32 v44, 0xbf68dda4, v42
	v_sub_f32_e32 v25, v25, v27
	v_mul_f32_e32 v27, 0xbf7d64f0, v40
	v_fma_f32 v0, 0x3f575c64, v43, -v45
	s_waitcnt lgkmcnt(0)
	v_fma_f32 v11, 0x3ed4b147, v41, -v44
	s_barrier
	buffer_gl0_inv
	v_add_f32_e32 v13, v8, v0
	v_lshl_add_u32 v0, v3, 2, 0
	v_add_f32_e32 v9, v26, v28
	v_sub_f32_e32 v7, v23, v21
	v_mul_f32_e32 v23, 0xbf4178ce, v25
	v_add_f32_e32 v11, v13, v11
	v_add_nc_u32_e32 v13, 0xc00, v0
	v_add_nc_u32_e32 v15, 0x1200, v0
	;; [unrolled: 1-line block ×4, first 2 shown]
	ds_read2_b32 v[35:36], v0 offset1:198
	ds_read2_b32 v[33:34], v13 offset0:24 offset1:222
	ds_read2_b32 v[31:32], v15 offset0:36 offset1:234
	;; [unrolled: 1-line block ×4, first 2 shown]
	v_fma_f32 v21, 0xbe11bafb, v39, -v27
	v_fma_f32 v48, 0xbf27a4f4, v9, -v23
	s_waitcnt lgkmcnt(0)
	s_barrier
	buffer_gl0_inv
	v_add_f32_e32 v47, v21, v11
	v_add_f32_e32 v11, v24, v22
	v_mul_f32_e32 v21, 0xbe903f40, v7
	v_add_f32_e32 v47, v47, v48
	v_fma_f32 v48, 0xbf75a155, v11, -v21
	v_add_f32_e32 v49, v48, v47
	s_and_saveexec_b32 s1, s0
	s_cbranch_execz .LBB0_15
; %bb.14:
	v_add_f32_e32 v14, v8, v14
	v_mul_f32_e32 v47, 0x3f575c64, v43
	v_mul_f32_e32 v52, 0xbf68dda4, v46
	;; [unrolled: 1-line block ×4, first 2 shown]
	v_add_f32_e32 v12, v14, v12
	v_mul_f32_e32 v54, 0xbf4178ce, v46
	v_mul_f32_e32 v55, 0x3e903f40, v42
	;; [unrolled: 1-line block ×4, first 2 shown]
	v_add_f32_e32 v10, v12, v10
	v_mul_f32_e32 v12, 0xbe903f40, v46
	v_mul_f32_e32 v46, 0xbf4178ce, v42
	;; [unrolled: 1-line block ×3, first 2 shown]
	v_add_f32_e32 v27, v50, v27
	v_add_f32_e32 v10, v10, v26
	;; [unrolled: 1-line block ×3, first 2 shown]
	v_fmamk_f32 v45, v43, 0x3ed4b147, v52
	v_fma_f32 v47, 0x3ed4b147, v43, -v52
	v_fmamk_f32 v52, v43, 0xbe11bafb, v53
	v_add_f32_e32 v10, v10, v24
	v_fma_f32 v24, 0xbe11bafb, v43, -v53
	v_fmamk_f32 v53, v43, 0xbf27a4f4, v54
	v_fma_f32 v54, 0xbf27a4f4, v43, -v54
	v_fmamk_f32 v57, v43, 0xbf75a155, v12
	v_add_f32_e32 v10, v10, v22
	v_fma_f32 v12, 0xbf75a155, v43, -v12
	v_add_f32_e32 v22, v48, v44
	v_fmamk_f32 v43, v41, 0xbf27a4f4, v46
	v_fma_f32 v44, 0xbf27a4f4, v41, -v46
	v_add_f32_e32 v10, v10, v28
	v_add_f32_e32 v26, v8, v26
	;; [unrolled: 1-line block ×4, first 2 shown]
	v_fmamk_f32 v28, v41, 0xbf75a155, v55
	v_add_f32_e32 v10, v18, v10
	v_add_f32_e32 v18, v8, v52
	;; [unrolled: 1-line block ×11, first 2 shown]
	v_fma_f32 v16, 0xbf75a155, v41, -v55
	v_add_f32_e32 v26, v46, v44
	v_fmamk_f32 v43, v41, 0xbe11bafb, v56
	v_mul_f32_e32 v44, 0x3e903f40, v40
	v_add_f32_e32 v18, v18, v28
	v_add_f32_e32 v16, v24, v16
	v_fma_f32 v24, 0xbe11bafb, v41, -v56
	v_add_f32_e32 v28, v47, v43
	v_fmamk_f32 v43, v41, 0x3f575c64, v42
	v_fma_f32 v41, 0x3f575c64, v41, -v42
	v_fmamk_f32 v42, v39, 0xbf75a155, v44
	v_add_f32_e32 v12, v27, v12
	v_fma_f32 v27, 0xbf75a155, v39, -v44
	v_mul_f32_e32 v51, 0xbf27a4f4, v9
	v_add_f32_e32 v8, v8, v41
	v_mul_f32_e32 v41, 0x3f68dda4, v40
	v_add_f32_e32 v22, v42, v22
	;; [unrolled: 2-line block ×3, first 2 shown]
	v_add_f32_e32 v26, v27, v26
	v_fmamk_f32 v43, v39, 0x3ed4b147, v41
	v_fma_f32 v41, 0x3ed4b147, v39, -v41
	v_mul_f32_e32 v27, 0xbf4178ce, v40
	v_fmamk_f32 v40, v39, 0x3f575c64, v42
	v_add_f32_e32 v23, v51, v23
	v_add_f32_e32 v24, v48, v24
	;; [unrolled: 1-line block ×3, first 2 shown]
	v_fma_f32 v41, 0x3f575c64, v39, -v42
	v_fmamk_f32 v42, v39, 0xbf27a4f4, v27
	v_add_f32_e32 v28, v40, v28
	v_mul_f32_e32 v40, 0x3f7d64f0, v25
	v_fma_f32 v27, 0xbf27a4f4, v39, -v27
	v_add_f32_e32 v12, v12, v23
	v_mul_f32_e32 v23, 0xbe903f40, v25
	v_mul_f32_e32 v14, 0xbf75a155, v11
	v_fmamk_f32 v39, v9, 0xbe11bafb, v40
	v_add_f32_e32 v8, v27, v8
	v_fma_f32 v27, 0xbe11bafb, v9, -v40
	v_mul_f32_e32 v40, 0xbf0a6770, v25
	v_add_f32_e32 v18, v43, v18
	v_add_f32_e32 v24, v41, v24
	;; [unrolled: 1-line block ×4, first 2 shown]
	v_fmamk_f32 v27, v9, 0x3f575c64, v40
	v_fma_f32 v39, 0x3f575c64, v9, -v40
	v_mul_f32_e32 v25, 0x3f68dda4, v25
	v_fmamk_f32 v40, v9, 0xbf75a155, v23
	v_fma_f32 v23, 0xbf75a155, v9, -v23
	v_add_f32_e32 v14, v14, v21
	v_mul_f32_e32 v21, 0xbf4178ce, v7
	v_add_f32_e32 v18, v18, v27
	v_fmamk_f32 v27, v9, 0x3ed4b147, v25
	v_add_f32_e32 v23, v24, v23
	v_fma_f32 v9, 0x3ed4b147, v9, -v25
	v_mul_f32_e32 v24, 0x3f0a6770, v7
	v_add_f32_e32 v12, v14, v12
	v_fmamk_f32 v14, v11, 0xbf27a4f4, v21
	v_mul_f32_e32 v25, 0x3f68dda4, v7
	v_add_f32_e32 v20, v42, v20
	v_add_f32_e32 v8, v8, v9
	v_fmamk_f32 v9, v11, 0x3f575c64, v24
	v_fma_f32 v24, 0x3f575c64, v11, -v24
	v_mul_f32_e32 v7, 0xbf7d64f0, v7
	v_add_f32_e32 v28, v28, v40
	v_add_f32_e32 v14, v14, v18
	v_fmamk_f32 v18, v11, 0x3ed4b147, v25
	v_add_f32_e32 v20, v20, v27
	v_add_f32_e32 v9, v9, v22
	v_add_f32_e32 v22, v24, v26
	v_fma_f32 v24, 0x3ed4b147, v11, -v25
	v_fmamk_f32 v25, v11, 0xbe11bafb, v7
	v_fma_f32 v7, 0xbe11bafb, v11, -v7
	v_add_f32_e32 v16, v16, v39
	v_fma_f32 v21, 0xbf27a4f4, v11, -v21
	v_add_f32_e32 v11, v18, v28
	v_mad_u32_u24 v18, v3, 40, v0
	v_add_f32_e32 v20, v25, v20
	v_add_f32_e32 v23, v24, v23
	;; [unrolled: 1-line block ×4, first 2 shown]
	ds_write2_b32 v18, v10, v12 offset1:1
	ds_write2_b32 v18, v9, v14 offset0:2 offset1:3
	ds_write2_b32 v18, v11, v20 offset0:4 offset1:5
	;; [unrolled: 1-line block ×4, first 2 shown]
	ds_write_b32 v18, v49 offset:40
.LBB0_15:
	s_or_b32 exec_lo, exec_lo, s1
	v_and_b32_e32 v10, 0xff, v3
	v_add_nc_u32_e32 v28, 0xc6, v3
	v_mov_b32_e32 v14, 0xba2f
	v_add_nc_u32_e32 v9, 0x252, v3
	v_add_nc_u32_e32 v11, 0x318, v3
	v_mul_lo_u16 v7, 0x75, v10
	v_mov_b32_e32 v16, 3
	s_load_dwordx2 s[4:5], s[4:5], 0x0
	v_mul_u32_u24_sdwa v20, v9, v14 dst_sel:DWORD dst_unused:UNUSED_PAD src0_sel:WORD_0 src1_sel:DWORD
	s_waitcnt lgkmcnt(0)
	v_lshrrev_b16 v8, 8, v7
	s_barrier
	buffer_gl0_inv
	v_lshrrev_b32_e32 v53, 19, v20
	v_add_nc_u32_e32 v50, 0xa00, v0
	v_sub_nc_u16 v7, v3, v8
	v_add_nc_u32_e32 v51, 0x1400, v0
	v_cmp_gt_u32_e64 s0, 0x42, v3
	v_mul_lo_u16 v22, v53, 11
	v_lshrrev_b16 v12, 1, v7
	v_add_nc_u32_e32 v7, 0x18c, v3
	v_sub_nc_u16 v57, v9, v22
	v_and_b32_e32 v12, 0x7f, v12
	v_mul_u32_u24_sdwa v18, v7, v14 dst_sel:DWORD dst_unused:UNUSED_PAD src0_sel:WORD_0 src1_sel:DWORD
	v_lshlrev_b32_sdwa v22, v16, v57 dst_sel:DWORD dst_unused:UNUSED_PAD src0_sel:DWORD src1_sel:WORD_0
	v_add_nc_u16 v8, v12, v8
	v_mul_u32_u24_sdwa v12, v28, v14 dst_sel:DWORD dst_unused:UNUSED_PAD src0_sel:WORD_0 src1_sel:DWORD
	v_mul_u32_u24_sdwa v14, v11, v14 dst_sel:DWORD dst_unused:UNUSED_PAD src0_sel:WORD_0 src1_sel:DWORD
	v_lshrrev_b32_e32 v18, 19, v18
	v_lshrrev_b16 v8, 3, v8
	v_lshrrev_b32_e32 v52, 19, v12
	v_lshrrev_b32_e32 v14, 19, v14
	v_mul_lo_u16 v21, v18, 11
	v_mul_u32_u24_e32 v18, 0x58, v18
	v_mul_lo_u16 v12, v8, 11
	v_mul_lo_u16 v20, v52, 11
	;; [unrolled: 1-line block ×3, first 2 shown]
	v_sub_nc_u16 v56, v7, v21
	v_mul_u32_u24_e32 v14, 0x58, v14
	v_sub_nc_u16 v55, v3, v12
	v_sub_nc_u16 v54, v28, v20
	;; [unrolled: 1-line block ×3, first 2 shown]
	v_lshlrev_b32_sdwa v21, v16, v56 dst_sel:DWORD dst_unused:UNUSED_PAD src0_sel:DWORD src1_sel:WORD_0
	v_lshlrev_b32_sdwa v12, v16, v55 dst_sel:DWORD dst_unused:UNUSED_PAD src0_sel:DWORD src1_sel:BYTE_0
	v_lshlrev_b32_sdwa v20, v16, v54 dst_sel:DWORD dst_unused:UNUSED_PAD src0_sel:DWORD src1_sel:WORD_0
	v_lshlrev_b32_sdwa v16, v16, v58 dst_sel:DWORD dst_unused:UNUSED_PAD src0_sel:DWORD src1_sel:WORD_0
	s_clause 0x4
	global_load_dwordx2 v[26:27], v12, s[12:13]
	global_load_dwordx2 v[39:40], v20, s[12:13]
	;; [unrolled: 1-line block ×5, first 2 shown]
	ds_read2_b32 v[20:21], v0 offset1:198
	ds_read2_b32 v[12:13], v13 offset0:24 offset1:222
	ds_read2_b32 v[47:48], v15 offset0:36 offset1:234
	;; [unrolled: 1-line block ×4, first 2 shown]
	v_mov_b32_e32 v15, 0x58
	v_mov_b32_e32 v16, 2
	v_mul_u32_u24_e32 v19, 0x58, v53
	v_mul_u32_u24_e32 v17, 0x58, v52
	s_waitcnt vmcnt(0) lgkmcnt(0)
	v_mul_u32_u24_sdwa v8, v8, v15 dst_sel:DWORD dst_unused:UNUSED_PAD src0_sel:WORD_0 src1_sel:DWORD
	v_lshlrev_b32_sdwa v53, v16, v56 dst_sel:DWORD dst_unused:UNUSED_PAD src0_sel:DWORD src1_sel:WORD_0
	v_lshlrev_b32_sdwa v56, v16, v58 dst_sel:DWORD dst_unused:UNUSED_PAD src0_sel:DWORD src1_sel:WORD_0
	v_lshlrev_b32_sdwa v15, v16, v55 dst_sel:DWORD dst_unused:UNUSED_PAD src0_sel:DWORD src1_sel:BYTE_0
	v_lshlrev_b32_sdwa v52, v16, v54 dst_sel:DWORD dst_unused:UNUSED_PAD src0_sel:DWORD src1_sel:WORD_0
	v_lshlrev_b32_sdwa v54, v16, v57 dst_sel:DWORD dst_unused:UNUSED_PAD src0_sel:DWORD src1_sel:WORD_0
	v_add3_u32 v53, 0, v18, v53
	v_add3_u32 v55, 0, v14, v56
	;; [unrolled: 1-line block ×5, first 2 shown]
	s_barrier
	buffer_gl0_inv
	v_mul_f32_e32 v8, v13, v27
	v_mul_f32_e32 v14, v47, v40
	;; [unrolled: 1-line block ×5, first 2 shown]
	v_fma_f32 v8, v34, v26, -v8
	v_fma_f32 v14, v31, v39, -v14
	;; [unrolled: 1-line block ×5, first 2 shown]
	v_sub_f32_e32 v18, v35, v8
	v_sub_f32_e32 v14, v36, v14
	;; [unrolled: 1-line block ×5, first 2 shown]
	v_fma_f32 v17, v35, 2.0, -v18
	v_fma_f32 v19, v36, 2.0, -v14
	v_fma_f32 v35, v37, 2.0, -v15
	v_fma_f32 v36, v38, 2.0, -v16
	v_fma_f32 v33, v33, 2.0, -v8
	ds_write2_b32 v56, v17, v18 offset1:11
	ds_write2_b32 v52, v19, v14 offset1:11
	ds_write2_b32 v53, v35, v15 offset1:11
	ds_write2_b32 v54, v36, v16 offset1:11
	ds_write2_b32 v55, v33, v8 offset1:11
	s_waitcnt lgkmcnt(0)
	s_barrier
	buffer_gl0_inv
	ds_read2_b32 v[14:15], v0 offset1:198
	ds_read2_b32 v[18:19], v50 offset0:20 offset1:218
	ds_read2_b32 v[16:17], v51 offset0:40 offset1:238
	ds_read_b32 v33, v0 offset:1584
	ds_read_b32 v37, v0 offset:4224
	ds_read_b32 v36, v0 offset:6864
                                        ; implicit-def: $vgpr35
	s_and_saveexec_b32 s1, s0
	s_cbranch_execz .LBB0_17
; %bb.16:
	ds_read_b32 v8, v0 offset:2376
	ds_read_b32 v4, v0 offset:5016
	ds_read_b32 v35, v0 offset:7656
.LBB0_17:
	s_or_b32 exec_lo, exec_lo, s1
	v_mul_f32_e32 v27, v34, v27
	v_mul_f32_e32 v31, v31, v40
	;; [unrolled: 1-line block ×5, first 2 shown]
	v_fmac_f32_e32 v27, v13, v26
	v_fmac_f32_e32 v31, v47, v39
	;; [unrolled: 1-line block ×5, first 2 shown]
	v_sub_f32_e32 v13, v20, v27
	v_sub_f32_e32 v26, v21, v31
	;; [unrolled: 1-line block ×5, first 2 shown]
	v_fma_f32 v20, v20, 2.0, -v13
	v_fma_f32 v21, v21, 2.0, -v26
	;; [unrolled: 1-line block ×5, first 2 shown]
	s_waitcnt lgkmcnt(0)
	s_barrier
	buffer_gl0_inv
	ds_write2_b32 v56, v20, v13 offset1:11
	ds_write2_b32 v52, v21, v26 offset1:11
	;; [unrolled: 1-line block ×5, first 2 shown]
	s_waitcnt lgkmcnt(0)
	s_barrier
	buffer_gl0_inv
	ds_read2_b32 v[12:13], v0 offset1:198
	ds_read2_b32 v[22:23], v50 offset0:20 offset1:218
	ds_read2_b32 v[20:21], v51 offset0:40 offset1:238
	ds_read_b32 v26, v0 offset:1584
	ds_read_b32 v29, v0 offset:4224
	;; [unrolled: 1-line block ×3, first 2 shown]
                                        ; implicit-def: $vgpr25
	s_and_saveexec_b32 s1, s0
	s_cbranch_execz .LBB0_19
; %bb.18:
	ds_read_b32 v24, v0 offset:2376
	ds_read_b32 v49, v0 offset:5016
	;; [unrolled: 1-line block ×3, first 2 shown]
.LBB0_19:
	s_or_b32 exec_lo, exec_lo, s1
	v_mov_b32_e32 v30, 0xba2f
	v_lshrrev_b16 v31, 1, v3
	v_mov_b32_e32 v39, 4
	v_mul_u32_u24_sdwa v32, v7, v30 dst_sel:DWORD dst_unused:UNUSED_PAD src0_sel:WORD_0 src1_sel:DWORD
	v_and_b32_e32 v31, 0x7f, v31
	v_mul_u32_u24_sdwa v34, v9, v30 dst_sel:DWORD dst_unused:UNUSED_PAD src0_sel:WORD_0 src1_sel:DWORD
	v_mul_u32_u24_sdwa v30, v28, v30 dst_sel:DWORD dst_unused:UNUSED_PAD src0_sel:WORD_0 src1_sel:DWORD
	v_lshrrev_b32_e32 v38, 20, v32
	v_mul_lo_u16 v31, 0xbb, v31
	v_lshrrev_b32_e32 v34, 20, v34
	v_lshrrev_b32_e32 v42, 20, v30
	v_mul_lo_u16 v32, v38, 22
	v_lshrrev_b16 v31, 11, v31
	v_mul_lo_u16 v40, v34, 22
	v_mul_lo_u16 v43, v42, 22
	v_mul_u32_u24_e32 v42, 0x108, v42
	v_sub_nc_u16 v41, v7, v32
	v_mul_lo_u16 v30, v31, 22
	v_sub_nc_u16 v32, v9, v40
	v_mul_u32_u24_e32 v38, 0x108, v38
	v_mul_lo_u16 v34, 0x42, v34
	v_lshlrev_b32_sdwa v40, v39, v41 dst_sel:DWORD dst_unused:UNUSED_PAD src0_sel:DWORD src1_sel:WORD_0
	v_sub_nc_u16 v44, v3, v30
	v_lshlrev_b32_sdwa v30, v39, v32 dst_sel:DWORD dst_unused:UNUSED_PAD src0_sel:DWORD src1_sel:WORD_0
	global_load_dwordx4 v[45:48], v40, s[12:13] offset:88
	v_sub_nc_u16 v40, v28, v43
	v_lshlrev_b32_sdwa v43, v39, v44 dst_sel:DWORD dst_unused:UNUSED_PAD src0_sel:DWORD src1_sel:BYTE_0
	s_clause 0x1
	global_load_dwordx4 v[51:54], v30, s[12:13] offset:88
	global_load_dwordx4 v[55:58], v43, s[12:13] offset:88
	v_lshlrev_b32_sdwa v30, v39, v40 dst_sel:DWORD dst_unused:UNUSED_PAD src0_sel:DWORD src1_sel:WORD_0
	v_mov_b32_e32 v39, 0x108
	global_load_dwordx4 v[59:62], v30, s[12:13] offset:88
	v_mov_b32_e32 v30, 2
	v_mul_u32_u24_sdwa v31, v31, v39 dst_sel:DWORD dst_unused:UNUSED_PAD src0_sel:WORD_0 src1_sel:DWORD
	s_waitcnt vmcnt(0) lgkmcnt(0)
	s_barrier
	buffer_gl0_inv
	v_lshlrev_b32_sdwa v40, v30, v40 dst_sel:DWORD dst_unused:UNUSED_PAD src0_sel:DWORD src1_sel:WORD_0
	v_lshlrev_b32_sdwa v41, v30, v41 dst_sel:DWORD dst_unused:UNUSED_PAD src0_sel:DWORD src1_sel:WORD_0
	v_lshlrev_b32_sdwa v43, v30, v44 dst_sel:DWORD dst_unused:UNUSED_PAD src0_sel:DWORD src1_sel:BYTE_0
	v_add3_u32 v39, 0, v42, v40
	v_add3_u32 v38, 0, v38, v41
	;; [unrolled: 1-line block ×3, first 2 shown]
	v_mul_f32_e32 v43, v37, v46
	v_mul_f32_e32 v41, v36, v48
	;; [unrolled: 1-line block ×12, first 2 shown]
	v_fmac_f32_e32 v43, v29, v45
	v_mul_f32_e32 v29, v23, v60
	v_fmac_f32_e32 v41, v27, v47
	v_mul_f32_e32 v27, v21, v62
	v_fma_f32 v37, v37, v45, -v31
	v_fma_f32 v36, v36, v47, -v63
	;; [unrolled: 1-line block ×3, first 2 shown]
	v_fmac_f32_e32 v44, v49, v51
	v_fma_f32 v35, v35, v53, -v52
	v_fmac_f32_e32 v42, v25, v53
	v_fma_f32 v25, v18, v55, -v54
	v_fma_f32 v49, v16, v57, -v56
	v_mul_f32_e32 v48, v19, v60
	v_mul_f32_e32 v47, v17, v62
	v_fmac_f32_e32 v50, v22, v55
	v_fmac_f32_e32 v46, v20, v57
	v_fma_f32 v20, v19, v59, -v29
	v_fma_f32 v22, v17, v61, -v27
	v_add_f32_e32 v16, v37, v36
	v_add_f32_e32 v19, v45, v35
	v_add_f32_e32 v27, v25, v49
	v_fmac_f32_e32 v48, v23, v59
	v_fmac_f32_e32 v47, v21, v61
	v_add_f32_e32 v51, v20, v22
	v_add_f32_e32 v4, v33, v37
	v_sub_f32_e32 v17, v43, v41
	v_add_f32_e32 v18, v8, v45
	v_sub_f32_e32 v21, v44, v42
	;; [unrolled: 2-line block ×3, first 2 shown]
	v_fmac_f32_e32 v33, -0.5, v16
	v_fmac_f32_e32 v8, -0.5, v19
	v_fma_f32 v14, -0.5, v27, v14
	v_add_f32_e32 v31, v15, v20
	v_sub_f32_e32 v52, v48, v47
	v_fmac_f32_e32 v15, -0.5, v51
	v_add_f32_e32 v53, v4, v36
	v_add_f32_e32 v4, v18, v35
	;; [unrolled: 1-line block ×3, first 2 shown]
	v_fmamk_f32 v19, v17, 0x3f5db3d7, v33
	v_fmac_f32_e32 v33, 0xbf5db3d7, v17
	v_fmamk_f32 v27, v21, 0x3f5db3d7, v8
	v_fmamk_f32 v17, v29, 0x3f5db3d7, v14
	v_fmac_f32_e32 v8, 0xbf5db3d7, v21
	v_fmac_f32_e32 v14, 0xbf5db3d7, v29
	v_add_f32_e32 v18, v31, v22
	v_fmamk_f32 v23, v52, 0x3f5db3d7, v15
	v_fmac_f32_e32 v15, 0xbf5db3d7, v52
	ds_write2_b32 v40, v16, v17 offset1:22
	ds_write_b32 v40, v14 offset:176
	ds_write2_b32 v39, v18, v23 offset1:22
	ds_write_b32 v39, v15 offset:176
	;; [unrolled: 2-line block ×3, first 2 shown]
	s_and_saveexec_b32 s1, s0
	s_cbranch_execz .LBB0_21
; %bb.20:
	v_lshlrev_b32_sdwa v14, v30, v32 dst_sel:DWORD dst_unused:UNUSED_PAD src0_sel:DWORD src1_sel:WORD_0
	v_lshlrev_b32_sdwa v15, v30, v34 dst_sel:DWORD dst_unused:UNUSED_PAD src0_sel:DWORD src1_sel:WORD_0
	v_add3_u32 v14, 0, v14, v15
	ds_write2_b32 v14, v4, v27 offset1:22
	ds_write_b32 v14, v8 offset:176
.LBB0_21:
	s_or_b32 exec_lo, exec_lo, s1
	v_add_nc_u32_e32 v16, 0xa00, v0
	v_add_nc_u32_e32 v17, 0x1400, v0
	s_waitcnt lgkmcnt(0)
	s_barrier
	buffer_gl0_inv
	ds_read2_b32 v[14:15], v0 offset1:198
	ds_read2_b32 v[18:19], v16 offset0:20 offset1:218
	ds_read2_b32 v[16:17], v17 offset0:40 offset1:238
	ds_read_b32 v29, v0 offset:1584
	ds_read_b32 v31, v0 offset:4224
	;; [unrolled: 1-line block ×3, first 2 shown]
	s_and_saveexec_b32 s1, s0
	s_cbranch_execz .LBB0_23
; %bb.22:
	ds_read_b32 v4, v0 offset:2376
	ds_read_b32 v27, v0 offset:5016
	;; [unrolled: 1-line block ×3, first 2 shown]
.LBB0_23:
	s_or_b32 exec_lo, exec_lo, s1
	v_add_f32_e32 v21, v50, v46
	v_add_f32_e32 v33, v48, v47
	;; [unrolled: 1-line block ×3, first 2 shown]
	v_sub_f32_e32 v25, v25, v49
	v_sub_f32_e32 v20, v20, v22
	v_fma_f32 v12, -0.5, v21, v12
	v_add_f32_e32 v21, v13, v48
	v_fmac_f32_e32 v13, -0.5, v33
	v_add_f32_e32 v22, v23, v46
	v_add_f32_e32 v33, v26, v43
	v_fmamk_f32 v23, v25, 0xbf5db3d7, v12
	v_fmac_f32_e32 v12, 0x3f5db3d7, v25
	v_add_f32_e32 v25, v43, v41
	v_fmamk_f32 v46, v20, 0xbf5db3d7, v13
	v_fmac_f32_e32 v13, 0x3f5db3d7, v20
	v_add_f32_e32 v20, v44, v42
	v_add_f32_e32 v21, v21, v47
	v_fmac_f32_e32 v26, -0.5, v25
	v_sub_f32_e32 v25, v37, v36
	v_add_f32_e32 v36, v24, v44
	v_fmac_f32_e32 v24, -0.5, v20
	v_sub_f32_e32 v20, v45, v35
	v_add_f32_e32 v35, v33, v41
	v_fmamk_f32 v37, v25, 0xbf5db3d7, v26
	v_fmac_f32_e32 v26, 0x3f5db3d7, v25
	v_add_f32_e32 v25, v36, v42
	v_fmamk_f32 v33, v20, 0xbf5db3d7, v24
	v_fmac_f32_e32 v24, 0x3f5db3d7, v20
	s_waitcnt lgkmcnt(0)
	s_barrier
	buffer_gl0_inv
	ds_write2_b32 v40, v22, v23 offset1:22
	ds_write_b32 v40, v12 offset:176
	ds_write2_b32 v39, v21, v46 offset1:22
	ds_write_b32 v39, v13 offset:176
	;; [unrolled: 2-line block ×3, first 2 shown]
	s_and_saveexec_b32 s1, s0
	s_cbranch_execz .LBB0_25
; %bb.24:
	v_mov_b32_e32 v12, 2
	v_lshlrev_b32_sdwa v13, v12, v32 dst_sel:DWORD dst_unused:UNUSED_PAD src0_sel:DWORD src1_sel:WORD_0
	v_lshlrev_b32_sdwa v12, v12, v34 dst_sel:DWORD dst_unused:UNUSED_PAD src0_sel:DWORD src1_sel:WORD_0
	v_add3_u32 v12, 0, v13, v12
	ds_write2_b32 v12, v25, v33 offset1:22
	ds_write_b32 v12, v24 offset:176
.LBB0_25:
	s_or_b32 exec_lo, exec_lo, s1
	v_add_nc_u32_e32 v20, 0xa00, v0
	v_add_nc_u32_e32 v21, 0x1400, v0
	s_waitcnt lgkmcnt(0)
	s_barrier
	buffer_gl0_inv
	ds_read2_b32 v[12:13], v0 offset1:198
	ds_read2_b32 v[22:23], v20 offset0:20 offset1:218
	ds_read2_b32 v[20:21], v21 offset0:40 offset1:238
	ds_read_b32 v26, v0 offset:1584
	ds_read_b32 v34, v0 offset:4224
	;; [unrolled: 1-line block ×3, first 2 shown]
	s_and_saveexec_b32 s1, s0
	s_cbranch_execz .LBB0_27
; %bb.26:
	ds_read_b32 v25, v0 offset:2376
	ds_read_b32 v33, v0 offset:5016
	;; [unrolled: 1-line block ×3, first 2 shown]
.LBB0_27:
	s_or_b32 exec_lo, exec_lo, s1
	v_mul_lo_u16 v10, 0xf9, v10
	v_mov_b32_e32 v35, 0xf83f
	v_mov_b32_e32 v38, 4
	;; [unrolled: 1-line block ×3, first 2 shown]
	v_lshrrev_b16 v10, 14, v10
	v_mul_u32_u24_sdwa v36, v28, v35 dst_sel:DWORD dst_unused:UNUSED_PAD src0_sel:WORD_0 src1_sel:DWORD
	v_mul_u32_u24_sdwa v39, v7, v35 dst_sel:DWORD dst_unused:UNUSED_PAD src0_sel:WORD_0 src1_sel:DWORD
	;; [unrolled: 1-line block ×3, first 2 shown]
	v_mul_lo_u16 v37, 0x42, v10
	v_lshrrev_b32_e32 v36, 22, v36
	v_lshrrev_b32_e32 v43, 22, v39
	;; [unrolled: 1-line block ×3, first 2 shown]
	v_sub_nc_u16 v37, v3, v37
	v_mul_lo_u16 v39, 0x42, v36
	v_mul_lo_u16 v44, 0x42, v43
	;; [unrolled: 1-line block ×3, first 2 shown]
	v_mul_u32_u24_e32 v36, 0x318, v36
	v_lshlrev_b32_sdwa v40, v38, v37 dst_sel:DWORD dst_unused:UNUSED_PAD src0_sel:DWORD src1_sel:BYTE_0
	v_sub_nc_u16 v45, v28, v39
	v_sub_nc_u16 v44, v7, v44
	;; [unrolled: 1-line block ×3, first 2 shown]
	v_mul_u32_u24_e32 v43, 0x318, v43
	global_load_dwordx4 v[39:42], v40, s[12:13] offset:440
	v_lshlrev_b32_sdwa v46, v38, v45 dst_sel:DWORD dst_unused:UNUSED_PAD src0_sel:DWORD src1_sel:WORD_0
	v_lshlrev_b32_sdwa v38, v38, v44 dst_sel:DWORD dst_unused:UNUSED_PAD src0_sel:DWORD src1_sel:WORD_0
	v_and_b32_e32 v35, 0xffff, v35
	v_lshlrev_b32_sdwa v37, v58, v37 dst_sel:DWORD dst_unused:UNUSED_PAD src0_sel:DWORD src1_sel:BYTE_0
	v_lshlrev_b32_sdwa v45, v58, v45 dst_sel:DWORD dst_unused:UNUSED_PAD src0_sel:DWORD src1_sel:WORD_0
	s_clause 0x1
	global_load_dwordx4 v[46:49], v46, s[12:13] offset:440
	global_load_dwordx4 v[50:53], v38, s[12:13] offset:440
	v_lshlrev_b32_e32 v38, 4, v35
	v_lshlrev_b32_sdwa v44, v58, v44 dst_sel:DWORD dst_unused:UNUSED_PAD src0_sel:DWORD src1_sel:WORD_0
	v_lshl_add_u32 v35, v35, 2, 0
	global_load_dwordx4 v[54:57], v38, s[12:13] offset:440
	v_mov_b32_e32 v38, 0x318
	s_waitcnt vmcnt(0) lgkmcnt(0)
	s_barrier
	buffer_gl0_inv
	v_mul_u32_u24_sdwa v10, v10, v38 dst_sel:DWORD dst_unused:UNUSED_PAD src0_sel:WORD_0 src1_sel:DWORD
	v_add3_u32 v38, 0, v10, v37
	v_add3_u32 v37, 0, v36, v45
	;; [unrolled: 1-line block ×3, first 2 shown]
	v_mul_f32_e32 v43, v22, v40
	v_mul_f32_e32 v10, v16, v42
	;; [unrolled: 1-line block ×4, first 2 shown]
	v_fma_f32 v18, v18, v39, -v43
	v_fmac_f32_e32 v10, v20, v41
	v_mul_f32_e32 v20, v23, v47
	v_mul_f32_e32 v43, v21, v49
	v_fmac_f32_e32 v45, v22, v39
	v_fma_f32 v22, v16, v41, -v40
	v_mul_f32_e32 v16, v19, v47
	v_mul_f32_e32 v39, v17, v49
	;; [unrolled: 1-line block ×6, first 2 shown]
	v_fma_f32 v42, v19, v46, -v20
	v_fma_f32 v44, v17, v48, -v43
	v_mul_f32_e32 v19, v24, v57
	v_fma_f32 v43, v31, v50, -v47
	v_fmac_f32_e32 v41, v34, v50
	v_fma_f32 v34, v30, v52, -v49
	v_mul_f32_e32 v30, v8, v57
	v_fmac_f32_e32 v39, v21, v48
	v_add_f32_e32 v21, v18, v22
	v_fmac_f32_e32 v16, v23, v46
	v_fmac_f32_e32 v40, v32, v52
	v_mul_f32_e32 v17, v33, v55
	v_add_f32_e32 v20, v14, v18
	v_fma_f32 v32, v8, v56, -v19
	v_add_f32_e32 v19, v42, v44
	v_mul_f32_e32 v31, v27, v55
	v_fmac_f32_e32 v30, v24, v56
	v_add_f32_e32 v24, v43, v34
	v_sub_f32_e32 v23, v45, v10
	v_fma_f32 v14, -0.5, v21, v14
	v_fma_f32 v27, v27, v54, -v17
	v_add_f32_e32 v8, v20, v22
	v_add_f32_e32 v17, v15, v42
	v_sub_f32_e32 v20, v16, v39
	v_add_f32_e32 v21, v29, v43
	v_fmac_f32_e32 v15, -0.5, v19
	v_fmac_f32_e32 v31, v33, v54
	v_sub_f32_e32 v33, v41, v40
	v_fmac_f32_e32 v29, -0.5, v24
	v_fmamk_f32 v46, v23, 0x3f5db3d7, v14
	v_fmac_f32_e32 v14, 0xbf5db3d7, v23
	v_add_f32_e32 v17, v17, v44
	v_add_f32_e32 v19, v21, v34
	v_fmamk_f32 v21, v20, 0x3f5db3d7, v15
	v_fmac_f32_e32 v15, 0xbf5db3d7, v20
	v_fmamk_f32 v20, v33, 0x3f5db3d7, v29
	v_fmac_f32_e32 v29, 0xbf5db3d7, v33
	ds_write2_b32 v38, v8, v46 offset1:66
	ds_write_b32 v38, v14 offset:528
	ds_write2_b32 v37, v17, v21 offset1:66
	ds_write_b32 v37, v15 offset:528
	;; [unrolled: 2-line block ×3, first 2 shown]
	s_and_saveexec_b32 s1, s0
	s_cbranch_execz .LBB0_29
; %bb.28:
	v_add_f32_e32 v8, v27, v32
	v_sub_f32_e32 v14, v31, v30
	v_add_f32_e32 v15, v4, v27
	v_fma_f32 v4, -0.5, v8, v4
	v_add_nc_u32_e32 v8, 0x1a00, v35
	v_add_f32_e32 v15, v15, v32
	v_fmamk_f32 v17, v14, 0xbf5db3d7, v4
	v_fmac_f32_e32 v4, 0x3f5db3d7, v14
	ds_write2_b32 v8, v15, v4 offset0:118 offset1:184
	ds_write_b32 v35, v17 offset:7656
.LBB0_29:
	s_or_b32 exec_lo, exec_lo, s1
	v_add_f32_e32 v4, v45, v10
	v_add_f32_e32 v8, v12, v45
	v_sub_f32_e32 v14, v18, v22
	v_add_f32_e32 v15, v16, v39
	v_add_nc_u32_e32 v24, 0x1800, v0
	v_fma_f32 v12, -0.5, v4, v12
	v_add_nc_u32_e32 v4, 0x600, v0
	v_add_f32_e32 v45, v8, v10
	v_add_nc_u32_e32 v8, 0xc00, v0
	v_add_nc_u32_e32 v10, 0x1200, v0
	v_add_f32_e32 v29, v13, v16
	v_fmac_f32_e32 v13, -0.5, v15
	v_fmamk_f32 v46, v14, 0xbf5db3d7, v12
	v_fmac_f32_e32 v12, 0x3f5db3d7, v14
	s_waitcnt lgkmcnt(0)
	s_barrier
	buffer_gl0_inv
	ds_read2_b32 v[14:15], v0 offset1:198
	ds_read2_b32 v[22:23], v4 offset0:12 offset1:210
	ds_read2_b32 v[20:21], v8 offset0:24 offset1:222
	;; [unrolled: 1-line block ×4, first 2 shown]
	v_add_f32_e32 v33, v41, v40
	v_sub_f32_e32 v42, v42, v44
	v_add_f32_e32 v41, v26, v41
	v_add_f32_e32 v29, v29, v39
	s_waitcnt lgkmcnt(0)
	v_fmac_f32_e32 v26, -0.5, v33
	v_sub_f32_e32 v33, v43, v34
	v_fmamk_f32 v34, v42, 0xbf5db3d7, v13
	v_fmac_f32_e32 v13, 0x3f5db3d7, v42
	v_add_f32_e32 v39, v41, v40
	s_barrier
	v_fmamk_f32 v40, v33, 0xbf5db3d7, v26
	v_fmac_f32_e32 v26, 0x3f5db3d7, v33
	buffer_gl0_inv
	ds_write2_b32 v38, v45, v46 offset1:66
	ds_write_b32 v38, v12 offset:528
	ds_write2_b32 v37, v29, v34 offset1:66
	ds_write_b32 v37, v13 offset:528
	;; [unrolled: 2-line block ×3, first 2 shown]
	s_and_saveexec_b32 s1, s0
	s_cbranch_execz .LBB0_31
; %bb.30:
	v_add_f32_e32 v12, v31, v30
	v_add_f32_e32 v13, v25, v31
	v_sub_f32_e32 v26, v27, v32
	v_fmac_f32_e32 v25, -0.5, v12
	v_add_nc_u32_e32 v12, 0x1a00, v35
	v_add_f32_e32 v13, v13, v30
	v_fmamk_f32 v27, v26, 0xbf5db3d7, v25
	v_fmamk_f32 v25, v26, 0x3f5db3d7, v25
	ds_write2_b32 v12, v13, v27 offset0:118 offset1:184
	ds_write_b32 v35, v25 offset:7656
.LBB0_31:
	s_or_b32 exec_lo, exec_lo, s1
	v_lshlrev_b32_e32 v12, 2, v3
	v_mov_b32_e32 v13, 0
	s_waitcnt lgkmcnt(0)
	s_barrier
	buffer_gl0_inv
	v_lshlrev_b64 v[25:26], 3, v[12:13]
	v_add_co_u32 v25, s0, s12, v25
	v_add_co_ci_u32_e64 v26, s0, s13, v26, s0
	s_clause 0x1
	global_load_dwordx4 v[29:32], v[25:26], off offset:1496
	global_load_dwordx4 v[33:36], v[25:26], off offset:1512
	ds_read2_b32 v[25:26], v4 offset0:12 offset1:210
	ds_read2_b32 v[37:38], v8 offset0:24 offset1:222
	;; [unrolled: 1-line block ×4, first 2 shown]
	ds_read2_b32 v[43:44], v0 offset1:198
	s_waitcnt vmcnt(0) lgkmcnt(0)
	s_barrier
	buffer_gl0_inv
	v_mul_f32_e32 v12, v25, v30
	v_mul_f32_e32 v45, v37, v32
	;; [unrolled: 1-line block ×12, first 2 shown]
	v_fma_f32 v12, v22, v29, -v12
	v_fma_f32 v20, v20, v31, -v45
	v_fma_f32 v18, v18, v33, -v47
	v_mul_f32_e32 v36, v17, v36
	v_fma_f32 v16, v16, v35, -v49
	v_mul_f32_e32 v30, v23, v30
	v_mul_f32_e32 v32, v21, v32
	;; [unrolled: 1-line block ×3, first 2 shown]
	v_fmac_f32_e32 v46, v37, v31
	v_fmac_f32_e32 v48, v39, v33
	v_fma_f32 v22, v23, v29, -v51
	v_fma_f32 v21, v21, v31, -v52
	;; [unrolled: 1-line block ×4, first 2 shown]
	v_fmac_f32_e32 v27, v25, v29
	v_fmac_f32_e32 v50, v41, v35
	v_add_f32_e32 v23, v14, v12
	v_add_f32_e32 v25, v20, v18
	v_fmac_f32_e32 v36, v42, v35
	v_add_f32_e32 v35, v12, v16
	v_fmac_f32_e32 v30, v26, v29
	v_fmac_f32_e32 v32, v38, v31
	;; [unrolled: 1-line block ×3, first 2 shown]
	v_add_f32_e32 v40, v46, v48
	v_add_f32_e32 v51, v15, v22
	v_add_f32_e32 v52, v21, v19
	v_add_f32_e32 v57, v22, v17
	v_sub_f32_e32 v26, v27, v50
	v_sub_f32_e32 v31, v12, v20
	;; [unrolled: 1-line block ×4, first 2 shown]
	v_add_f32_e32 v20, v23, v20
	v_fma_f32 v25, -0.5, v25, v14
	v_sub_f32_e32 v29, v46, v48
	v_sub_f32_e32 v33, v16, v18
	v_add_f32_e32 v39, v43, v27
	v_fma_f32 v14, -0.5, v35, v14
	v_add_f32_e32 v47, v27, v50
	v_sub_f32_e32 v42, v27, v46
	v_sub_f32_e32 v27, v46, v27
	;; [unrolled: 1-line block ×9, first 2 shown]
	v_add_f32_e32 v21, v51, v21
	v_fma_f32 v35, -0.5, v40, v43
	v_fma_f32 v40, -0.5, v52, v15
	v_fmac_f32_e32 v15, -0.5, v57
	v_sub_f32_e32 v38, v18, v16
	v_add_f32_e32 v60, v44, v30
	v_add_f32_e32 v61, v32, v34
	;; [unrolled: 1-line block ×3, first 2 shown]
	v_fmamk_f32 v20, v26, 0x3f737871, v25
	v_add_f32_e32 v23, v31, v33
	v_add_f32_e32 v33, v39, v46
	v_fmamk_f32 v46, v29, 0xbf737871, v14
	v_fmac_f32_e32 v14, 0x3f737871, v29
	v_fma_f32 v39, -0.5, v47, v43
	v_fmac_f32_e32 v25, 0xbf737871, v26
	v_sub_f32_e32 v45, v50, v48
	v_sub_f32_e32 v56, v17, v19
	;; [unrolled: 1-line block ×3, first 2 shown]
	v_add_f32_e32 v27, v27, v49
	v_add_f32_e32 v19, v21, v19
	v_fmamk_f32 v21, v53, 0x3f737871, v40
	v_fmamk_f32 v49, v54, 0xbf737871, v15
	v_fmac_f32_e32 v40, 0xbf737871, v53
	v_fmac_f32_e32 v15, 0x3f737871, v54
	v_sub_f32_e32 v63, v30, v32
	v_add_f32_e32 v65, v30, v36
	v_sub_f32_e32 v30, v32, v30
	v_add_f32_e32 v32, v60, v32
	v_fma_f32 v43, -0.5, v61, v44
	v_fmac_f32_e32 v20, 0x3f167918, v29
	v_add_f32_e32 v31, v37, v38
	v_fmac_f32_e32 v46, 0x3f167918, v26
	v_fmac_f32_e32 v14, 0xbf167918, v26
	v_sub_f32_e32 v12, v12, v16
	v_add_f32_e32 v33, v33, v48
	v_fmamk_f32 v48, v41, 0x3f737871, v39
	v_fmac_f32_e32 v39, 0xbf737871, v41
	v_fmac_f32_e32 v25, 0xbf167918, v29
	v_add_f32_e32 v37, v42, v45
	v_add_f32_e32 v38, v55, v56
	;; [unrolled: 1-line block ×3, first 2 shown]
	v_fmac_f32_e32 v21, 0x3f167918, v54
	v_fmac_f32_e32 v49, 0x3f167918, v53
	v_fmac_f32_e32 v40, 0xbf167918, v54
	v_fmac_f32_e32 v15, 0xbf167918, v53
	v_sub_f32_e32 v64, v36, v34
	v_sub_f32_e32 v66, v34, v36
	v_fmac_f32_e32 v44, -0.5, v65
	v_add_f32_e32 v32, v32, v34
	v_fmamk_f32 v34, v62, 0xbf737871, v43
	v_fmac_f32_e32 v43, 0x3f737871, v62
	v_add_f32_e32 v16, v18, v16
	v_fmac_f32_e32 v20, 0x3e9e377a, v23
	v_fmac_f32_e32 v46, 0x3e9e377a, v31
	;; [unrolled: 1-line block ×3, first 2 shown]
	v_fmamk_f32 v47, v12, 0xbf737871, v35
	v_fmac_f32_e32 v35, 0x3f737871, v12
	v_fmac_f32_e32 v48, 0xbf167918, v12
	;; [unrolled: 1-line block ×3, first 2 shown]
	v_add_f32_e32 v12, v19, v17
	v_fmac_f32_e32 v25, 0x3e9e377a, v23
	v_fmac_f32_e32 v21, 0x3e9e377a, v38
	;; [unrolled: 1-line block ×5, first 2 shown]
	v_fmamk_f32 v51, v22, 0x3f737871, v44
	v_fmac_f32_e32 v44, 0xbf737871, v22
	v_fmac_f32_e32 v34, 0xbf167918, v22
	;; [unrolled: 1-line block ×3, first 2 shown]
	ds_write2_b32 v0, v16, v20 offset1:198
	ds_write2_b32 v4, v46, v14 offset0:12 offset1:210
	ds_write2_b32 v8, v25, v12 offset0:24 offset1:222
	ds_write2_b32 v10, v21, v49 offset0:36 offset1:234
	ds_write2_b32 v24, v15, v40 offset0:48 offset1:246
	s_waitcnt lgkmcnt(0)
	s_barrier
	buffer_gl0_inv
	ds_read2_b32 v[14:15], v0 offset1:198
	ds_read2_b32 v[18:19], v8 offset0:24 offset1:222
	ds_read2_b32 v[20:21], v10 offset0:36 offset1:234
	;; [unrolled: 1-line block ×4, first 2 shown]
	v_fmac_f32_e32 v47, 0xbf167918, v41
	v_fmac_f32_e32 v35, 0x3f167918, v41
	v_add_f32_e32 v45, v63, v64
	v_fmac_f32_e32 v51, 0xbf167918, v62
	v_add_f32_e32 v12, v30, v66
	;; [unrolled: 2-line block ×3, first 2 shown]
	v_fmac_f32_e32 v47, 0x3e9e377a, v37
	v_fmac_f32_e32 v48, 0x3e9e377a, v27
	;; [unrolled: 1-line block ×4, first 2 shown]
	v_add_f32_e32 v25, v32, v36
	v_fmac_f32_e32 v34, 0x3e9e377a, v45
	v_fmac_f32_e32 v51, 0x3e9e377a, v12
	;; [unrolled: 1-line block ×4, first 2 shown]
	s_waitcnt lgkmcnt(0)
	s_barrier
	buffer_gl0_inv
	ds_write2_b32 v0, v26, v47 offset1:198
	ds_write2_b32 v4, v48, v39 offset0:12 offset1:210
	ds_write2_b32 v8, v35, v25 offset0:24 offset1:222
	ds_write2_b32 v10, v34, v51 offset0:36 offset1:234
	ds_write2_b32 v24, v44, v43 offset0:48 offset1:246
	s_waitcnt lgkmcnt(0)
	s_barrier
	buffer_gl0_inv
	s_and_saveexec_b32 s0, vcc_lo
	s_cbranch_execz .LBB0_33
; %bb.32:
	v_mov_b32_e32 v12, v13
	v_mov_b32_e32 v10, v13
	;; [unrolled: 1-line block ×3, first 2 shown]
	v_mad_u64_u32 v[35:36], null, s2, v3, 0
	v_lshlrev_b64 v[24:25], 3, v[11:12]
	v_lshlrev_b64 v[26:27], 3, v[9:10]
	v_mul_lo_u32 v6, s4, v6
	v_add_nc_u32_e32 v53, 0x3de, v3
	v_mad_u64_u32 v[37:38], null, s2, v28, 0
	v_add_co_u32 v4, vcc_lo, s12, v24
	v_add_co_ci_u32_e32 v10, vcc_lo, s13, v25, vcc_lo
	v_add_co_u32 v12, vcc_lo, s12, v26
	v_add_co_ci_u32_e32 v27, vcc_lo, s13, v27, vcc_lo
	v_add_co_u32 v24, vcc_lo, 0x1800, v4
	v_mov_b32_e32 v4, v13
	v_add_co_ci_u32_e32 v25, vcc_lo, 0, v10, vcc_lo
	v_add_co_u32 v26, vcc_lo, 0x1800, v12
	v_lshlrev_b64 v[12:13], 3, v[7:8]
	v_lshlrev_b64 v[29:30], 3, v[3:4]
	v_add_co_ci_u32_e32 v27, vcc_lo, 0, v27, vcc_lo
	s_clause 0x1
	global_load_dwordx2 v[24:25], v[24:25], off offset:1688
	global_load_dwordx2 v[26:27], v[26:27], off offset:1688
	v_add_co_u32 v4, vcc_lo, s12, v12
	v_add_co_ci_u32_e32 v8, vcc_lo, s13, v13, vcc_lo
	v_add_co_u32 v10, vcc_lo, s12, v29
	v_add_co_ci_u32_e32 v32, vcc_lo, s13, v30, vcc_lo
	;; [unrolled: 2-line block ×5, first 2 shown]
	s_clause 0x2
	global_load_dwordx2 v[12:13], v[12:13], off offset:1688
	global_load_dwordx2 v[29:30], v[29:30], off offset:1224
	;; [unrolled: 1-line block ×3, first 2 shown]
	v_mul_lo_u32 v8, s5, v5
	v_mad_u64_u32 v[4:5], null, s4, v5, 0
	v_add_nc_u32_e32 v54, 0x4a4, v3
	v_mul_hi_u32 v51, 0x21195767, v7
	v_mul_hi_u32 v52, 0x21195767, v9
	v_mad_u64_u32 v[47:48], null, s2, v53, 0
	v_mad_u64_u32 v[49:50], null, s2, v54, 0
	v_add_nc_u32_e32 v10, 0xc00, v0
	v_add_nc_u32_e32 v41, 0x1800, v0
	;; [unrolled: 1-line block ×4, first 2 shown]
	ds_read2_b32 v[33:34], v0 offset1:198
	v_lshlrev_b64 v[0:1], 3, v[1:2]
	v_mov_b32_e32 v2, v36
	v_add3_u32 v5, v5, v6, v8
	v_mov_b32_e32 v6, v38
	v_mul_hi_u32 v55, 0x21195767, v11
	ds_read2_b32 v[39:40], v10 offset0:24 offset1:222
	ds_read2_b32 v[41:42], v41 offset0:48 offset1:246
	;; [unrolled: 1-line block ×4, first 2 shown]
	v_mad_u64_u32 v[2:3], null, s3, v3, v[2:3]
	v_lshrrev_b32_e32 v8, 7, v51
	v_lshrrev_b32_e32 v10, 7, v52
	v_lshlrev_b64 v[3:4], 3, v[4:5]
	v_mov_b32_e32 v5, v48
	v_mad_u64_u32 v[51:52], null, s3, v28, v[6:7]
	v_mov_b32_e32 v6, v50
	v_mad_u32_u24 v28, 0x3de, v8, v7
	v_lshrrev_b32_e32 v36, 7, v55
	v_mad_u32_u24 v58, 0x3de, v10, v9
	v_mad_u64_u32 v[7:8], null, s3, v53, v[5:6]
	v_mad_u32_u24 v59, 0x3de, v36, v11
	v_mad_u64_u32 v[8:9], null, s2, v28, 0
	v_mad_u64_u32 v[10:11], null, s2, v58, 0
	v_mov_b32_e32 v38, v51
	v_mad_u64_u32 v[5:6], null, s3, v54, v[6:7]
	v_add_co_u32 v6, vcc_lo, s10, v3
	v_add_co_ci_u32_e32 v4, vcc_lo, s11, v4, vcc_lo
	v_mov_b32_e32 v36, v2
	v_add_nc_u32_e32 v61, 0x3de, v58
	v_add_co_u32 v63, vcc_lo, v6, v0
	v_mad_u64_u32 v[52:53], null, s2, v59, 0
	v_mov_b32_e32 v48, v7
	v_lshlrev_b64 v[6:7], 3, v[37:38]
	v_add_nc_u32_e32 v60, 0x3de, v28
	v_add_co_ci_u32_e32 v64, vcc_lo, v4, v1, vcc_lo
	v_lshlrev_b64 v[0:1], 3, v[35:36]
	v_mov_b32_e32 v50, v5
	v_mov_b32_e32 v4, v9
	;; [unrolled: 1-line block ×3, first 2 shown]
	v_add_nc_u32_e32 v62, 0x3de, v59
	v_mad_u64_u32 v[54:55], null, s2, v61, 0
	v_mad_u64_u32 v[2:3], null, s2, v60, 0
	v_lshlrev_b64 v[35:36], 3, v[47:48]
	v_mad_u64_u32 v[47:48], null, s3, v28, v[4:5]
	v_mad_u64_u32 v[4:5], null, s3, v58, v[5:6]
	v_mad_u64_u32 v[56:57], null, s2, v62, 0
	v_add_co_u32 v0, vcc_lo, v63, v0
	v_mov_b32_e32 v9, v53
	v_add_co_ci_u32_e32 v1, vcc_lo, v64, v1, vcc_lo
	v_mov_b32_e32 v5, v55
	v_add_co_u32 v6, vcc_lo, v63, v6
	v_lshlrev_b64 v[37:38], 3, v[49:50]
	v_mad_u64_u32 v[48:49], null, s3, v59, v[9:10]
	v_mad_u64_u32 v[49:50], null, s3, v60, v[3:4]
	v_mov_b32_e32 v9, v57
	v_mad_u64_u32 v[50:51], null, s3, v61, v[5:6]
	v_mov_b32_e32 v11, v4
	v_mov_b32_e32 v53, v48
	v_mad_u64_u32 v[57:58], null, s3, v62, v[9:10]
	v_mov_b32_e32 v9, v47
	v_add_co_ci_u32_e32 v7, vcc_lo, v64, v7, vcc_lo
	v_mov_b32_e32 v55, v50
	v_add_co_u32 v35, vcc_lo, v63, v35
	v_lshlrev_b64 v[4:5], 3, v[8:9]
	v_add_co_ci_u32_e32 v36, vcc_lo, v64, v36, vcc_lo
	v_add_co_u32 v37, vcc_lo, v63, v37
	v_lshlrev_b64 v[8:9], 3, v[10:11]
	v_lshlrev_b64 v[10:11], 3, v[52:53]
	;; [unrolled: 1-line block ×3, first 2 shown]
	v_mov_b32_e32 v3, v49
	v_add_co_ci_u32_e32 v38, vcc_lo, v64, v38, vcc_lo
	v_add_co_u32 v4, vcc_lo, v63, v4
	v_add_co_ci_u32_e32 v5, vcc_lo, v64, v5, vcc_lo
	v_lshlrev_b64 v[2:3], 3, v[2:3]
	v_add_co_u32 v8, vcc_lo, v63, v8
	v_add_co_ci_u32_e32 v9, vcc_lo, v64, v9, vcc_lo
	v_add_co_u32 v10, vcc_lo, v63, v10
	v_add_co_ci_u32_e32 v11, vcc_lo, v64, v11, vcc_lo
	v_lshlrev_b64 v[49:50], 3, v[56:57]
	v_add_co_u32 v2, vcc_lo, v63, v2
	v_add_co_ci_u32_e32 v3, vcc_lo, v64, v3, vcc_lo
	v_add_co_u32 v47, vcc_lo, v63, v47
	v_add_co_ci_u32_e32 v48, vcc_lo, v64, v48, vcc_lo
	;; [unrolled: 2-line block ×3, first 2 shown]
	s_waitcnt vmcnt(4)
	v_mul_f32_e32 v28, v23, v25
	s_waitcnt lgkmcnt(2)
	v_mul_f32_e32 v25, v42, v25
	s_waitcnt vmcnt(3)
	v_mul_f32_e32 v51, v22, v27
	v_mul_f32_e32 v27, v41, v27
	v_fmac_f32_e32 v28, v42, v24
	v_fma_f32 v23, v23, v24, -v25
	v_fmac_f32_e32 v51, v41, v26
	v_fma_f32 v22, v22, v26, -v27
	s_waitcnt vmcnt(2)
	v_mul_f32_e32 v52, v21, v13
	s_waitcnt vmcnt(1)
	v_mul_f32_e32 v53, v20, v30
	s_waitcnt lgkmcnt(0)
	v_mul_f32_e32 v30, v45, v30
	s_waitcnt vmcnt(0)
	v_mul_f32_e32 v54, v19, v32
	v_mul_f32_e32 v32, v40, v32
	;; [unrolled: 1-line block ×3, first 2 shown]
	v_fmac_f32_e32 v53, v45, v29
	v_fma_f32 v25, v20, v29, -v30
	v_fmac_f32_e32 v54, v40, v31
	v_fma_f32 v27, v19, v31, -v32
	;; [unrolled: 2-line block ×3, first 2 shown]
	v_sub_f32_e32 v12, v18, v23
	v_sub_f32_e32 v23, v15, v25
	;; [unrolled: 1-line block ×10, first 2 shown]
	v_fma_f32 v30, v33, 2.0, -v26
	v_fma_f32 v29, v14, 2.0, -v25
	;; [unrolled: 1-line block ×10, first 2 shown]
	global_store_dwordx2 v[0:1], v[29:30], off
	global_store_dwordx2 v[35:36], v[25:26], off
	;; [unrolled: 1-line block ×10, first 2 shown]
.LBB0_33:
	s_endpgm
	.section	.rodata,"a",@progbits
	.p2align	6, 0x0
	.amdhsa_kernel fft_rtc_fwd_len1980_factors_11_2_3_3_5_2_wgs_198_tpt_198_halfLds_sp_op_CI_CI_sbrr_dirReg
		.amdhsa_group_segment_fixed_size 0
		.amdhsa_private_segment_fixed_size 0
		.amdhsa_kernarg_size 104
		.amdhsa_user_sgpr_count 6
		.amdhsa_user_sgpr_private_segment_buffer 1
		.amdhsa_user_sgpr_dispatch_ptr 0
		.amdhsa_user_sgpr_queue_ptr 0
		.amdhsa_user_sgpr_kernarg_segment_ptr 1
		.amdhsa_user_sgpr_dispatch_id 0
		.amdhsa_user_sgpr_flat_scratch_init 0
		.amdhsa_user_sgpr_private_segment_size 0
		.amdhsa_wavefront_size32 1
		.amdhsa_uses_dynamic_stack 0
		.amdhsa_system_sgpr_private_segment_wavefront_offset 0
		.amdhsa_system_sgpr_workgroup_id_x 1
		.amdhsa_system_sgpr_workgroup_id_y 0
		.amdhsa_system_sgpr_workgroup_id_z 0
		.amdhsa_system_sgpr_workgroup_info 0
		.amdhsa_system_vgpr_workitem_id 0
		.amdhsa_next_free_vgpr 67
		.amdhsa_next_free_sgpr 31
		.amdhsa_reserve_vcc 1
		.amdhsa_reserve_flat_scratch 0
		.amdhsa_float_round_mode_32 0
		.amdhsa_float_round_mode_16_64 0
		.amdhsa_float_denorm_mode_32 3
		.amdhsa_float_denorm_mode_16_64 3
		.amdhsa_dx10_clamp 1
		.amdhsa_ieee_mode 1
		.amdhsa_fp16_overflow 0
		.amdhsa_workgroup_processor_mode 1
		.amdhsa_memory_ordered 1
		.amdhsa_forward_progress 0
		.amdhsa_shared_vgpr_count 0
		.amdhsa_exception_fp_ieee_invalid_op 0
		.amdhsa_exception_fp_denorm_src 0
		.amdhsa_exception_fp_ieee_div_zero 0
		.amdhsa_exception_fp_ieee_overflow 0
		.amdhsa_exception_fp_ieee_underflow 0
		.amdhsa_exception_fp_ieee_inexact 0
		.amdhsa_exception_int_div_zero 0
	.end_amdhsa_kernel
	.text
.Lfunc_end0:
	.size	fft_rtc_fwd_len1980_factors_11_2_3_3_5_2_wgs_198_tpt_198_halfLds_sp_op_CI_CI_sbrr_dirReg, .Lfunc_end0-fft_rtc_fwd_len1980_factors_11_2_3_3_5_2_wgs_198_tpt_198_halfLds_sp_op_CI_CI_sbrr_dirReg
                                        ; -- End function
	.section	.AMDGPU.csdata,"",@progbits
; Kernel info:
; codeLenInByte = 10004
; NumSgprs: 33
; NumVgprs: 67
; ScratchSize: 0
; MemoryBound: 0
; FloatMode: 240
; IeeeMode: 1
; LDSByteSize: 0 bytes/workgroup (compile time only)
; SGPRBlocks: 4
; VGPRBlocks: 8
; NumSGPRsForWavesPerEU: 33
; NumVGPRsForWavesPerEU: 67
; Occupancy: 12
; WaveLimiterHint : 1
; COMPUTE_PGM_RSRC2:SCRATCH_EN: 0
; COMPUTE_PGM_RSRC2:USER_SGPR: 6
; COMPUTE_PGM_RSRC2:TRAP_HANDLER: 0
; COMPUTE_PGM_RSRC2:TGID_X_EN: 1
; COMPUTE_PGM_RSRC2:TGID_Y_EN: 0
; COMPUTE_PGM_RSRC2:TGID_Z_EN: 0
; COMPUTE_PGM_RSRC2:TIDIG_COMP_CNT: 0
	.text
	.p2alignl 6, 3214868480
	.fill 48, 4, 3214868480
	.type	__hip_cuid_f387f7b2c6c9fc41,@object ; @__hip_cuid_f387f7b2c6c9fc41
	.section	.bss,"aw",@nobits
	.globl	__hip_cuid_f387f7b2c6c9fc41
__hip_cuid_f387f7b2c6c9fc41:
	.byte	0                               ; 0x0
	.size	__hip_cuid_f387f7b2c6c9fc41, 1

	.ident	"AMD clang version 19.0.0git (https://github.com/RadeonOpenCompute/llvm-project roc-6.4.0 25133 c7fe45cf4b819c5991fe208aaa96edf142730f1d)"
	.section	".note.GNU-stack","",@progbits
	.addrsig
	.addrsig_sym __hip_cuid_f387f7b2c6c9fc41
	.amdgpu_metadata
---
amdhsa.kernels:
  - .args:
      - .actual_access:  read_only
        .address_space:  global
        .offset:         0
        .size:           8
        .value_kind:     global_buffer
      - .offset:         8
        .size:           8
        .value_kind:     by_value
      - .actual_access:  read_only
        .address_space:  global
        .offset:         16
        .size:           8
        .value_kind:     global_buffer
      - .actual_access:  read_only
        .address_space:  global
        .offset:         24
        .size:           8
        .value_kind:     global_buffer
      - .actual_access:  read_only
        .address_space:  global
        .offset:         32
        .size:           8
        .value_kind:     global_buffer
      - .offset:         40
        .size:           8
        .value_kind:     by_value
      - .actual_access:  read_only
        .address_space:  global
        .offset:         48
        .size:           8
        .value_kind:     global_buffer
      - .actual_access:  read_only
        .address_space:  global
        .offset:         56
        .size:           8
        .value_kind:     global_buffer
      - .offset:         64
        .size:           4
        .value_kind:     by_value
      - .actual_access:  read_only
        .address_space:  global
        .offset:         72
        .size:           8
        .value_kind:     global_buffer
      - .actual_access:  read_only
        .address_space:  global
        .offset:         80
        .size:           8
        .value_kind:     global_buffer
      - .actual_access:  read_only
        .address_space:  global
        .offset:         88
        .size:           8
        .value_kind:     global_buffer
      - .actual_access:  write_only
        .address_space:  global
        .offset:         96
        .size:           8
        .value_kind:     global_buffer
    .group_segment_fixed_size: 0
    .kernarg_segment_align: 8
    .kernarg_segment_size: 104
    .language:       OpenCL C
    .language_version:
      - 2
      - 0
    .max_flat_workgroup_size: 198
    .name:           fft_rtc_fwd_len1980_factors_11_2_3_3_5_2_wgs_198_tpt_198_halfLds_sp_op_CI_CI_sbrr_dirReg
    .private_segment_fixed_size: 0
    .sgpr_count:     33
    .sgpr_spill_count: 0
    .symbol:         fft_rtc_fwd_len1980_factors_11_2_3_3_5_2_wgs_198_tpt_198_halfLds_sp_op_CI_CI_sbrr_dirReg.kd
    .uniform_work_group_size: 1
    .uses_dynamic_stack: false
    .vgpr_count:     67
    .vgpr_spill_count: 0
    .wavefront_size: 32
    .workgroup_processor_mode: 1
amdhsa.target:   amdgcn-amd-amdhsa--gfx1030
amdhsa.version:
  - 1
  - 2
...

	.end_amdgpu_metadata
